;; amdgpu-corpus repo=ROCm/rocFFT kind=compiled arch=gfx1030 opt=O3
	.text
	.amdgcn_target "amdgcn-amd-amdhsa--gfx1030"
	.amdhsa_code_object_version 6
	.protected	bluestein_single_fwd_len800_dim1_sp_op_CI_CI ; -- Begin function bluestein_single_fwd_len800_dim1_sp_op_CI_CI
	.globl	bluestein_single_fwd_len800_dim1_sp_op_CI_CI
	.p2align	8
	.type	bluestein_single_fwd_len800_dim1_sp_op_CI_CI,@function
bluestein_single_fwd_len800_dim1_sp_op_CI_CI: ; @bluestein_single_fwd_len800_dim1_sp_op_CI_CI
; %bb.0:
	s_load_dwordx4 s[0:3], s[4:5], 0x28
	v_mul_u32_u24_e32 v1, 0x19a, v0
	v_mov_b32_e32 v60, 0
	v_lshrrev_b32_e32 v1, 16, v1
	v_add_nc_u32_e32 v59, s6, v1
	s_waitcnt lgkmcnt(0)
	v_cmp_gt_u64_e32 vcc_lo, s[0:1], v[59:60]
	s_and_saveexec_b32 s0, vcc_lo
	s_cbranch_execz .LBB0_23
; %bb.1:
	s_clause 0x1
	s_load_dwordx2 s[14:15], s[4:5], 0x0
	s_load_dwordx2 s[12:13], s[4:5], 0x38
	v_mul_lo_u16 v1, 0xa0, v1
	v_sub_nc_u16 v0, v0, v1
	v_and_b32_e32 v63, 0xffff, v0
	v_cmp_gt_u16_e32 vcc_lo, 50, v0
	v_lshlrev_b32_e32 v62, 3, v63
	s_and_saveexec_b32 s1, vcc_lo
	s_cbranch_execz .LBB0_3
; %bb.2:
	s_load_dwordx2 s[6:7], s[4:5], 0x18
	s_waitcnt lgkmcnt(0)
	v_add_co_u32 v20, s0, s14, v62
	v_add_co_ci_u32_e64 v21, null, s15, 0, s0
	v_add_nc_u32_e32 v58, 0xc00, v62
	v_add_nc_u32_e32 v72, 0x1000, v62
	s_load_dwordx4 s[8:11], s[6:7], 0x0
	s_clause 0x3
	global_load_dwordx2 v[4:5], v62, s[14:15]
	global_load_dwordx2 v[6:7], v62, s[14:15] offset:400
	global_load_dwordx2 v[8:9], v62, s[14:15] offset:800
	;; [unrolled: 1-line block ×3, first 2 shown]
	s_waitcnt lgkmcnt(0)
	v_mad_u64_u32 v[0:1], null, s10, v59, 0
	v_mad_u64_u32 v[2:3], null, s8, v63, 0
	s_mul_i32 s6, s9, 0x190
	s_mul_hi_u32 s7, s8, 0x190
	s_add_i32 s7, s7, s6
	v_mad_u64_u32 v[12:13], null, s11, v59, v[1:2]
	s_clause 0x1
	global_load_dwordx2 v[13:14], v62, s[14:15] offset:1600
	global_load_dwordx2 v[15:16], v62, s[14:15] offset:2000
	v_mov_b32_e32 v1, v12
	v_lshlrev_b64 v[0:1], 3, v[0:1]
	s_waitcnt vmcnt(5)
	v_mad_u64_u32 v[17:18], null, s9, v63, v[3:4]
	v_add_co_u32 v18, s0, 0x800, v20
	v_add_co_ci_u32_e64 v19, s0, 0, v21, s0
	v_add_co_u32 v20, s0, 0x1000, v20
	v_mov_b32_e32 v3, v17
	v_add_co_ci_u32_e64 v21, s0, 0, v21, s0
	v_add_co_u32 v0, s0, s2, v0
	v_lshlrev_b64 v[2:3], 3, v[2:3]
	v_add_co_ci_u32_e64 v1, s0, s3, v1, s0
	s_mul_i32 s2, s8, 0x190
	s_clause 0x4
	global_load_dwordx2 v[22:23], v[18:19], off offset:352
	global_load_dwordx2 v[24:25], v[18:19], off offset:752
	global_load_dwordx2 v[26:27], v[18:19], off offset:1152
	global_load_dwordx2 v[28:29], v[18:19], off offset:1552
	global_load_dwordx2 v[17:18], v[18:19], off offset:1952
	v_add_co_u32 v0, s0, v0, v2
	v_add_co_ci_u32_e64 v1, s0, v1, v3, s0
	s_clause 0x2
	global_load_dwordx2 v[32:33], v[20:21], off offset:304
	global_load_dwordx2 v[34:35], v[20:21], off offset:704
	;; [unrolled: 1-line block ×3, first 2 shown]
	v_add_co_u32 v2, s0, v0, s2
	v_add_co_ci_u32_e64 v3, s0, s7, v1, s0
	global_load_dwordx2 v[0:1], v[0:1], off
	v_add_co_u32 v30, s0, v2, s2
	v_add_co_ci_u32_e64 v31, s0, s7, v3, s0
	v_add_co_u32 v38, s0, v30, s2
	v_add_co_ci_u32_e64 v39, s0, s7, v31, s0
	;; [unrolled: 2-line block ×3, first 2 shown]
	s_clause 0x2
	global_load_dwordx2 v[2:3], v[2:3], off
	global_load_dwordx2 v[30:31], v[30:31], off
	;; [unrolled: 1-line block ×3, first 2 shown]
	v_add_co_u32 v42, s0, v40, s2
	v_add_co_ci_u32_e64 v43, s0, s7, v41, s0
	global_load_dwordx2 v[40:41], v[40:41], off
	v_add_co_u32 v44, s0, v42, s2
	v_add_co_ci_u32_e64 v45, s0, s7, v43, s0
	global_load_dwordx2 v[42:43], v[42:43], off
	;; [unrolled: 3-line block ×10, first 2 shown]
	v_add_co_u32 v66, s0, v64, s2
	v_add_co_ci_u32_e64 v67, s0, s7, v65, s0
	global_load_dwordx2 v[68:69], v[20:21], off offset:1504
	global_load_dwordx2 v[64:65], v[64:65], off
	global_load_dwordx2 v[19:20], v[20:21], off offset:1904
	global_load_dwordx2 v[66:67], v[66:67], off
	v_add_nc_u32_e32 v21, 0x800, v62
	s_waitcnt vmcnt(17)
	v_mul_f32_e32 v70, v1, v5
	v_mul_f32_e32 v5, v0, v5
	v_fmac_f32_e32 v70, v0, v4
	v_fma_f32 v71, v1, v4, -v5
	s_waitcnt vmcnt(16)
	v_mul_f32_e32 v0, v3, v7
	v_mul_f32_e32 v1, v2, v7
	s_waitcnt vmcnt(15)
	v_mul_f32_e32 v4, v31, v9
	v_mul_f32_e32 v5, v30, v9
	s_waitcnt vmcnt(14)
	v_mul_f32_e32 v7, v38, v11
	v_fmac_f32_e32 v0, v2, v6
	v_fma_f32 v1, v3, v6, -v1
	v_fmac_f32_e32 v4, v30, v8
	v_fma_f32 v5, v31, v8, -v5
	v_fma_f32 v3, v39, v10, -v7
	s_waitcnt vmcnt(13)
	v_mul_f32_e32 v7, v40, v14
	v_mul_f32_e32 v6, v41, v14
	s_waitcnt vmcnt(12)
	v_mul_f32_e32 v9, v42, v16
	v_mul_f32_e32 v8, v43, v16
	;; [unrolled: 1-line block ×3, first 2 shown]
	v_fma_f32 v7, v41, v13, -v7
	v_fmac_f32_e32 v6, v40, v13
	v_fma_f32 v9, v43, v15, -v9
	v_fmac_f32_e32 v8, v42, v15
	v_fmac_f32_e32 v2, v38, v10
	ds_write2_b64 v62, v[70:71], v[0:1] offset1:50
	ds_write2_b64 v62, v[4:5], v[2:3] offset0:100 offset1:150
	ds_write2_b64 v62, v[6:7], v[8:9] offset0:200 offset1:250
	s_waitcnt vmcnt(11)
	v_mul_f32_e32 v0, v45, v23
	v_mul_f32_e32 v1, v44, v23
	s_waitcnt vmcnt(10)
	v_mul_f32_e32 v2, v47, v25
	v_mul_f32_e32 v3, v46, v25
	;; [unrolled: 3-line block ×3, first 2 shown]
	v_fmac_f32_e32 v0, v44, v22
	s_waitcnt vmcnt(8)
	v_mul_f32_e32 v6, v51, v29
	v_mul_f32_e32 v7, v50, v29
	v_fma_f32 v1, v45, v22, -v1
	v_fmac_f32_e32 v2, v46, v24
	v_fma_f32 v3, v47, v24, -v3
	s_waitcnt vmcnt(7)
	v_mul_f32_e32 v8, v53, v18
	v_mul_f32_e32 v9, v52, v18
	v_fmac_f32_e32 v4, v48, v26
	v_fma_f32 v5, v49, v26, -v5
	v_fmac_f32_e32 v6, v50, v28
	s_waitcnt vmcnt(6)
	v_mul_f32_e32 v10, v55, v33
	v_mul_f32_e32 v11, v54, v33
	v_fmac_f32_e32 v8, v52, v17
	v_fma_f32 v9, v53, v17, -v9
	v_fma_f32 v7, v51, v28, -v7
	s_waitcnt vmcnt(5)
	v_mul_f32_e32 v12, v57, v35
	v_mul_f32_e32 v13, v56, v35
	v_fmac_f32_e32 v10, v54, v32
	v_fma_f32 v11, v55, v32, -v11
	s_waitcnt vmcnt(4)
	v_mul_f32_e32 v14, v61, v37
	v_mul_f32_e32 v15, v60, v37
	v_fmac_f32_e32 v12, v56, v34
	s_waitcnt vmcnt(2)
	v_mul_f32_e32 v16, v65, v69
	v_mul_f32_e32 v17, v64, v69
	s_waitcnt vmcnt(0)
	v_mul_f32_e32 v18, v67, v20
	v_mul_f32_e32 v20, v66, v20
	v_fma_f32 v13, v57, v34, -v13
	v_fmac_f32_e32 v14, v60, v36
	v_fma_f32 v15, v61, v36, -v15
	v_fmac_f32_e32 v16, v64, v68
	v_fma_f32 v17, v65, v68, -v17
	v_fmac_f32_e32 v18, v66, v19
	v_fma_f32 v19, v67, v19, -v20
	ds_write2_b64 v21, v[0:1], v[2:3] offset0:44 offset1:94
	ds_write2_b64 v21, v[4:5], v[6:7] offset0:144 offset1:194
	;; [unrolled: 1-line block ×5, first 2 shown]
.LBB0_3:
	s_or_b32 exec_lo, exec_lo, s1
	s_clause 0x1
	s_load_dwordx2 s[0:1], s[4:5], 0x20
	s_load_dwordx2 s[2:3], s[4:5], 0x8
	s_waitcnt lgkmcnt(0)
	s_barrier
	buffer_gl0_inv
                                        ; implicit-def: $vgpr14
                                        ; implicit-def: $vgpr22
                                        ; implicit-def: $vgpr18
                                        ; implicit-def: $vgpr30
                                        ; implicit-def: $vgpr10
                                        ; implicit-def: $vgpr26
                                        ; implicit-def: $vgpr6
                                        ; implicit-def: $vgpr2
	s_and_saveexec_b32 s4, vcc_lo
	s_cbranch_execz .LBB0_5
; %bb.4:
	v_add_nc_u32_e32 v12, 0x800, v62
	v_add_nc_u32_e32 v13, 0xc00, v62
	;; [unrolled: 1-line block ×3, first 2 shown]
	ds_read2_b64 v[0:3], v62 offset1:50
	ds_read2_b64 v[4:7], v62 offset0:100 offset1:150
	ds_read2_b64 v[24:27], v62 offset0:200 offset1:250
	;; [unrolled: 1-line block ×7, first 2 shown]
.LBB0_5:
	s_or_b32 exec_lo, exec_lo, s4
	s_waitcnt lgkmcnt(3)
	v_sub_f32_e32 v28, v0, v28
	v_sub_f32_e32 v29, v1, v29
	s_waitcnt lgkmcnt(1)
	v_sub_f32_e32 v20, v24, v20
	v_sub_f32_e32 v21, v25, v21
	;; [unrolled: 1-line block ×4, first 2 shown]
	s_waitcnt lgkmcnt(0)
	v_sub_f32_e32 v12, v8, v12
	v_sub_f32_e32 v13, v9, v13
	v_fma_f32 v0, v0, 2.0, -v28
	v_fma_f32 v1, v1, 2.0, -v29
	;; [unrolled: 1-line block ×8, first 2 shown]
	v_sub_f32_e32 v30, v2, v30
	v_sub_f32_e32 v31, v3, v31
	;; [unrolled: 1-line block ×12, first 2 shown]
	v_add_f32_e32 v12, v12, v17
	v_fma_f32 v3, v3, 2.0, -v31
	v_fma_f32 v26, v26, 2.0, -v22
	;; [unrolled: 1-line block ×6, first 2 shown]
	v_sub_f32_e32 v21, v28, v21
	v_add_f32_e32 v20, v20, v29
	v_fma_f32 v32, v0, 2.0, -v24
	v_fma_f32 v33, v1, 2.0, -v25
	;; [unrolled: 1-line block ×3, first 2 shown]
	v_sub_f32_e32 v13, v16, v13
	v_fma_f32 v1, v5, 2.0, -v9
	v_fma_f32 v5, v17, 2.0, -v12
	v_sub_f32_e32 v17, v30, v23
	v_add_f32_e32 v22, v22, v31
	v_sub_f32_e32 v15, v18, v15
	v_add_f32_e32 v14, v14, v19
	v_fma_f32 v2, v2, 2.0, -v30
	v_fma_f32 v6, v6, 2.0, -v18
	;; [unrolled: 1-line block ×3, first 2 shown]
	v_sub_f32_e32 v27, v3, v27
	v_fma_f32 v4, v16, 2.0, -v13
	v_sub_f32_e32 v11, v7, v11
	v_fma_f32 v30, v30, 2.0, -v17
	v_fma_f32 v31, v31, 2.0, -v22
	;; [unrolled: 1-line block ×3, first 2 shown]
	v_sub_f32_e32 v0, v32, v0
	v_fma_f32 v19, v19, 2.0, -v14
	v_fmamk_f32 v46, v13, 0x3f3504f3, v21
	v_fmamk_f32 v47, v12, 0x3f3504f3, v20
	v_fma_f32 v29, v29, 2.0, -v20
	v_sub_f32_e32 v26, v2, v26
	v_fma_f32 v23, v3, 2.0, -v27
	v_fma_f32 v35, v7, 2.0, -v11
	v_fmamk_f32 v40, v4, 0xbf3504f3, v28
	v_sub_f32_e32 v3, v33, v1
	v_fma_f32 v1, v32, 2.0, -v0
	v_fmac_f32_e32 v46, 0xbf3504f3, v12
	v_fmac_f32_e32 v47, 0x3f3504f3, v13
	v_fmamk_f32 v13, v18, 0xbf3504f3, v30
	v_fmamk_f32 v32, v19, 0xbf3504f3, v31
	v_sub_f32_e32 v10, v6, v10
	v_fmamk_f32 v41, v5, 0xbf3504f3, v29
	v_fmac_f32_e32 v40, 0xbf3504f3, v5
	v_sub_f32_e32 v44, v24, v9
	v_add_f32_e32 v45, v8, v25
	v_fma_f32 v8, v21, 2.0, -v46
	v_sub_f32_e32 v21, v23, v35
	v_fma_f32 v9, v20, 2.0, -v47
	v_fmac_f32_e32 v13, 0xbf3504f3, v19
	v_fmac_f32_e32 v32, 0x3f3504f3, v18
	v_fmamk_f32 v18, v15, 0x3f3504f3, v17
	v_fmamk_f32 v20, v14, 0x3f3504f3, v22
	v_sub_f32_e32 v11, v26, v11
	v_fma_f32 v16, v2, 2.0, -v26
	v_fma_f32 v34, v6, 2.0, -v10
	v_fmac_f32_e32 v41, 0x3f3504f3, v4
	v_fma_f32 v5, v24, 2.0, -v44
	v_fma_f32 v19, v23, 2.0, -v21
	;; [unrolled: 1-line block ×3, first 2 shown]
	v_add_f32_e32 v10, v10, v27
	v_fmac_f32_e32 v18, 0xbf3504f3, v14
	v_fmac_f32_e32 v20, 0x3f3504f3, v15
	v_fma_f32 v15, v26, 2.0, -v11
	v_fmamk_f32 v30, v13, 0x3ec3ef15, v40
	v_fma_f32 v2, v33, 2.0, -v3
	v_fma_f32 v4, v28, 2.0, -v40
	;; [unrolled: 1-line block ×4, first 2 shown]
	v_sub_f32_e32 v12, v16, v34
	v_fma_f32 v14, v31, 2.0, -v32
	v_fma_f32 v27, v27, 2.0, -v10
	;; [unrolled: 1-line block ×4, first 2 shown]
	v_fmamk_f32 v24, v15, 0xbf3504f3, v5
	v_fmamk_f32 v31, v32, 0x3ec3ef15, v41
	v_fmac_f32_e32 v30, 0xbf6c835e, v32
	v_fmamk_f32 v32, v11, 0x3f3504f3, v44
	v_fmamk_f32 v33, v10, 0x3f3504f3, v45
	;; [unrolled: 1-line block ×4, first 2 shown]
	v_fma_f32 v16, v16, 2.0, -v12
	v_fmamk_f32 v38, v23, 0xbf6c835e, v4
	v_fmamk_f32 v39, v14, 0xbf6c835e, v6
	;; [unrolled: 1-line block ×4, first 2 shown]
	v_fmac_f32_e32 v24, 0xbf3504f3, v27
	v_fmamk_f32 v27, v22, 0xbec3ef15, v9
	v_fmac_f32_e32 v31, 0x3f6c835e, v13
	v_fmac_f32_e32 v32, 0xbf3504f3, v10
	;; [unrolled: 1-line block ×5, first 2 shown]
	v_sub_f32_e32 v36, v1, v16
	v_sub_f32_e32 v37, v2, v19
	v_fmac_f32_e32 v38, 0xbec3ef15, v14
	v_fmac_f32_e32 v39, 0x3ec3ef15, v23
	;; [unrolled: 1-line block ×5, first 2 shown]
	v_sub_f32_e32 v28, v0, v21
	v_add_f32_e32 v29, v12, v3
	v_fma_f32 v42, v40, 2.0, -v30
	v_fma_f32 v43, v41, 2.0, -v31
	;; [unrolled: 1-line block ×6, first 2 shown]
	v_lshlrev_b16 v65, 4, v63
	s_barrier
	buffer_gl0_inv
	s_and_saveexec_b32 s4, vcc_lo
	s_cbranch_execz .LBB0_7
; %bb.6:
	v_fma_f32 v41, v3, 2.0, -v29
	v_mov_b32_e32 v3, 3
	v_fma_f32 v13, v6, 2.0, -v39
	v_fma_f32 v12, v4, 2.0, -v38
	;; [unrolled: 1-line block ×4, first 2 shown]
	v_lshlrev_b32_sdwa v1, v3, v65 dst_sel:DWORD dst_unused:UNUSED_PAD src0_sel:DWORD src1_sel:WORD_0
	v_fma_f32 v9, v9, 2.0, -v27
	v_fma_f32 v8, v8, 2.0, -v26
	;; [unrolled: 1-line block ×5, first 2 shown]
	ds_write_b128 v1, v[10:13]
	ds_write_b128 v1, v[6:9] offset:16
	ds_write_b128 v1, v[40:43] offset:32
	;; [unrolled: 1-line block ×7, first 2 shown]
.LBB0_7:
	s_or_b32 exec_lo, exec_lo, s4
	v_and_b32_e32 v11, 15, v63
	s_load_dwordx4 s[4:7], s[0:1], 0x0
	s_waitcnt lgkmcnt(0)
	s_barrier
	buffer_gl0_inv
	v_lshlrev_b32_e32 v0, 5, v11
	v_lshrrev_b32_e32 v12, 4, v63
	v_cmp_gt_u16_e64 s0, 0x50, v63
	s_clause 0x1
	global_load_dwordx4 v[20:23], v0, s[2:3]
	global_load_dwordx4 v[16:19], v0, s[2:3] offset:16
	v_add_nc_u32_e32 v0, 0x800, v62
	v_mul_u32_u24_e32 v12, 0x50, v12
	ds_read2_b64 v[1:4], v62 offset1:160
	ds_read2_b64 v[5:8], v0 offset0:64 offset1:224
	ds_read_b64 v[9:10], v62 offset:5120
	v_or_b32_e32 v11, v12, v11
	s_waitcnt vmcnt(0) lgkmcnt(0)
	s_barrier
	buffer_gl0_inv
	v_lshlrev_b32_e32 v64, 3, v11
	v_mul_f32_e32 v11, v4, v21
	v_mul_f32_e32 v12, v3, v21
	;; [unrolled: 1-line block ×8, first 2 shown]
	v_fma_f32 v3, v3, v20, -v11
	v_fmac_f32_e32 v12, v4, v20
	v_fma_f32 v4, v5, v22, -v13
	v_fmac_f32_e32 v14, v6, v22
	;; [unrolled: 2-line block ×3, first 2 shown]
	v_fmac_f32_e32 v48, v8, v16
	v_fma_f32 v6, v9, v18, -v40
	v_sub_f32_e32 v41, v4, v3
	v_add_f32_e32 v8, v4, v5
	v_add_f32_e32 v55, v12, v49
	;; [unrolled: 1-line block ×4, first 2 shown]
	v_sub_f32_e32 v50, v5, v6
	v_add_f32_e32 v7, v1, v3
	v_sub_f32_e32 v9, v12, v49
	v_sub_f32_e32 v10, v14, v48
	;; [unrolled: 1-line block ×4, first 2 shown]
	v_add_f32_e32 v51, v2, v12
	v_sub_f32_e32 v3, v3, v6
	v_sub_f32_e32 v60, v4, v5
	;; [unrolled: 1-line block ×6, first 2 shown]
	v_fma_f32 v40, -0.5, v8, v1
	v_fma_f32 v57, -0.5, v15, v1
	v_add_f32_e32 v1, v41, v50
	v_fma_f32 v41, -0.5, v52, v2
	v_fma_f32 v58, -0.5, v55, v2
	v_add_f32_e32 v4, v7, v4
	v_add_f32_e32 v7, v11, v13
	;; [unrolled: 1-line block ×5, first 2 shown]
	v_fmamk_f32 v53, v9, 0x3f737871, v40
	v_fmac_f32_e32 v40, 0xbf737871, v9
	v_fmamk_f32 v55, v10, 0xbf737871, v57
	v_fmac_f32_e32 v57, 0x3f737871, v10
	;; [unrolled: 2-line block ×4, first 2 shown]
	v_add_f32_e32 v4, v4, v5
	v_add_f32_e32 v5, v8, v48
	v_fmac_f32_e32 v53, 0x3f167918, v10
	v_fmac_f32_e32 v40, 0xbf167918, v10
	;; [unrolled: 1-line block ×8, first 2 shown]
	v_add_f32_e32 v51, v4, v6
	v_add_f32_e32 v52, v5, v49
	v_fmac_f32_e32 v53, 0x3e9e377a, v7
	v_fmac_f32_e32 v40, 0x3e9e377a, v7
	;; [unrolled: 1-line block ×8, first 2 shown]
	ds_write2_b64 v64, v[51:52], v[53:54] offset1:16
	ds_write2_b64 v64, v[55:56], v[57:58] offset0:32 offset1:48
	ds_write_b64 v64, v[40:41] offset:512
	s_waitcnt lgkmcnt(0)
	s_barrier
	buffer_gl0_inv
	s_and_saveexec_b32 s1, s0
	s_cbranch_execz .LBB0_9
; %bb.8:
	v_add_nc_u32_e32 v1, 0xc00, v62
	v_add_nc_u32_e32 v2, 0x1000, v62
	ds_read2_b64 v[51:54], v62 offset1:80
	ds_read2_b64 v[55:58], v62 offset0:160 offset1:240
	ds_read2_b64 v[40:43], v0 offset0:64 offset1:144
	;; [unrolled: 1-line block ×4, first 2 shown]
.LBB0_9:
	s_or_b32 exec_lo, exec_lo, s1
	v_add_nc_u32_e32 v0, 0xffffffb0, v63
	v_cndmask_b32_e64 v0, v0, v63, s0
	v_mul_i32_i24_e32 v1, 0x48, v0
	v_mul_hi_i32_i24_e32 v0, 0x48, v0
	v_add_co_u32 v48, s1, s2, v1
	v_add_co_ci_u32_e64 v49, s1, s3, v0, s1
	s_clause 0x4
	global_load_dwordx4 v[4:7], v[48:49], off offset:512
	global_load_dwordx4 v[0:3], v[48:49], off offset:528
	;; [unrolled: 1-line block ×4, first 2 shown]
	global_load_dwordx2 v[60:61], v[48:49], off offset:576
	s_waitcnt vmcnt(4) lgkmcnt(4)
	v_mul_f32_e32 v48, v54, v5
	v_mul_f32_e32 v49, v53, v5
	s_waitcnt lgkmcnt(3)
	v_mul_f32_e32 v50, v56, v7
	v_mul_f32_e32 v66, v55, v7
	s_waitcnt vmcnt(3)
	v_mul_f32_e32 v67, v58, v1
	v_mul_f32_e32 v68, v57, v1
	s_waitcnt lgkmcnt(2)
	v_mul_f32_e32 v69, v41, v3
	v_mul_f32_e32 v70, v40, v3
	s_waitcnt vmcnt(2)
	;; [unrolled: 6-line block ×4, first 2 shown]
	v_mul_f32_e32 v79, v39, v61
	v_mul_f32_e32 v80, v38, v61
	v_fma_f32 v48, v53, v4, -v48
	v_fmac_f32_e32 v49, v54, v4
	v_fma_f32 v50, v55, v6, -v50
	v_fmac_f32_e32 v66, v56, v6
	;; [unrolled: 2-line block ×9, first 2 shown]
	v_add_f32_e32 v38, v51, v50
	v_add_f32_e32 v39, v40, v42
	v_sub_f32_e32 v44, v66, v78
	v_sub_f32_e32 v46, v50, v40
	;; [unrolled: 1-line block ×3, first 2 shown]
	v_add_f32_e32 v54, v50, v36
	v_add_f32_e32 v57, v52, v66
	v_sub_f32_e32 v69, v66, v70
	v_sub_f32_e32 v71, v78, v74
	v_add_f32_e32 v73, v66, v78
	v_sub_f32_e32 v66, v70, v66
	v_sub_f32_e32 v75, v74, v78
	v_add_f32_e32 v77, v48, v53
	v_add_f32_e32 v79, v41, v43
	;; [unrolled: 1-line block ×6, first 2 shown]
	v_sub_f32_e32 v55, v40, v50
	v_sub_f32_e32 v56, v42, v36
	v_add_f32_e32 v58, v70, v74
	v_sub_f32_e32 v67, v40, v42
	v_sub_f32_e32 v81, v68, v80
	;; [unrolled: 1-line block ×7, first 2 shown]
	v_add_f32_e32 v38, v38, v40
	v_add_f32_e32 v40, v46, v47
	v_fma_f32 v95, -0.5, v39, v51
	v_fmac_f32_e32 v51, -0.5, v54
	v_add_f32_e32 v46, v57, v70
	v_add_f32_e32 v47, v69, v71
	;; [unrolled: 1-line block ×3, first 2 shown]
	v_fma_f32 v57, -0.5, v79, v48
	v_fmac_f32_e32 v48, -0.5, v85
	v_add_f32_e32 v66, v88, v72
	v_add_f32_e32 v41, v77, v41
	v_fma_f32 v69, -0.5, v89, v49
	v_fmac_f32_e32 v49, -0.5, v92
	v_sub_f32_e32 v45, v70, v74
	v_sub_f32_e32 v84, v37, v43
	;; [unrolled: 1-line block ×7, first 2 shown]
	v_add_f32_e32 v39, v55, v56
	v_fma_f32 v56, -0.5, v58, v52
	v_fmac_f32_e32 v52, -0.5, v73
	v_add_f32_e32 v38, v38, v42
	v_add_f32_e32 v42, v46, v74
	;; [unrolled: 1-line block ×3, first 2 shown]
	v_fmamk_f32 v43, v81, 0x3f737871, v57
	v_fmac_f32_e32 v57, 0xbf737871, v81
	v_fmamk_f32 v75, v82, 0xbf737871, v48
	v_fmac_f32_e32 v48, 0x3f737871, v82
	v_add_f32_e32 v46, v66, v76
	v_fmamk_f32 v66, v53, 0xbf737871, v69
	v_fmac_f32_e32 v69, 0x3f737871, v53
	v_fmamk_f32 v76, v94, 0x3f737871, v49
	v_fmac_f32_e32 v49, 0xbf737871, v94
	v_sub_f32_e32 v50, v50, v36
	v_add_f32_e32 v55, v83, v84
	v_add_f32_e32 v58, v86, v87
	;; [unrolled: 1-line block ×4, first 2 shown]
	v_fmamk_f32 v71, v44, 0x3f737871, v95
	v_fmac_f32_e32 v95, 0xbf737871, v44
	v_fmamk_f32 v72, v45, 0xbf737871, v51
	v_fmac_f32_e32 v51, 0x3f737871, v45
	;; [unrolled: 2-line block ×3, first 2 shown]
	v_fmac_f32_e32 v43, 0x3f167918, v82
	v_fmac_f32_e32 v57, 0xbf167918, v82
	;; [unrolled: 1-line block ×8, first 2 shown]
	v_fmamk_f32 v73, v50, 0xbf737871, v56
	v_fmac_f32_e32 v56, 0x3f737871, v50
	v_add_f32_e32 v38, v38, v36
	v_fmac_f32_e32 v71, 0x3f167918, v45
	v_fmac_f32_e32 v95, 0xbf167918, v45
	;; [unrolled: 1-line block ×6, first 2 shown]
	v_add_f32_e32 v41, v41, v37
	v_fmac_f32_e32 v43, 0x3e9e377a, v55
	v_fmac_f32_e32 v57, 0x3e9e377a, v55
	;; [unrolled: 1-line block ×10, first 2 shown]
	v_add_f32_e32 v44, v46, v80
	v_fmac_f32_e32 v71, 0x3e9e377a, v40
	v_fmac_f32_e32 v95, 0x3e9e377a, v40
	;; [unrolled: 1-line block ×6, first 2 shown]
	v_add_f32_e32 v36, v38, v41
	v_sub_f32_e32 v46, v38, v41
	v_mul_f32_e32 v50, 0x3f167918, v66
	v_mul_f32_e32 v53, 0x3f737871, v76
	;; [unrolled: 1-line block ×8, first 2 shown]
	v_add_f32_e32 v42, v42, v78
	v_fmac_f32_e32 v73, 0x3e9e377a, v47
	v_fmac_f32_e32 v56, 0x3e9e377a, v47
	;; [unrolled: 1-line block ×4, first 2 shown]
	v_fma_f32 v49, 0x3f737871, v49, -v38
	v_fma_f32 v55, 0x3f167918, v69, -v39
	v_fmac_f32_e32 v54, 0x3f4f1bbd, v66
	v_fmac_f32_e32 v58, 0x3e9e377a, v76
	v_fma_f32 v66, 0xbf737871, v48, -v40
	v_fma_f32 v57, 0xbf167918, v57, -v41
	v_add_f32_e32 v37, v42, v44
	v_sub_f32_e32 v47, v42, v44
	v_add_f32_e32 v38, v71, v50
	v_add_f32_e32 v40, v72, v53
	;; [unrolled: 1-line block ×8, first 2 shown]
	v_sub_f32_e32 v48, v71, v50
	v_sub_f32_e32 v50, v72, v53
	;; [unrolled: 1-line block ×8, first 2 shown]
	s_and_saveexec_b32 s1, s0
	s_cbranch_execz .LBB0_11
; %bb.10:
	v_add_nc_u32_e32 v52, 0x800, v62
	v_add_nc_u32_e32 v57, 0xc00, v62
	;; [unrolled: 1-line block ×3, first 2 shown]
	ds_write2_b64 v62, v[36:37], v[38:39] offset1:80
	ds_write2_b64 v62, v[40:41], v[42:43] offset0:160 offset1:240
	ds_write2_b64 v52, v[44:45], v[46:47] offset0:64 offset1:144
	ds_write2_b64 v57, v[48:49], v[50:51] offset0:96 offset1:176
	ds_write2_b64 v58, v[53:54], v[55:56] offset0:128 offset1:208
.LBB0_11:
	s_or_b32 exec_lo, exec_lo, s1
	s_waitcnt lgkmcnt(0)
	s_barrier
	buffer_gl0_inv
	s_and_saveexec_b32 s2, vcc_lo
	s_cbranch_execz .LBB0_13
; %bb.12:
	v_add_co_u32 v52, s1, s14, v62
	v_add_co_ci_u32_e64 v70, null, s15, 0, s1
	v_add_nc_u32_e32 v123, 0x800, v62
	v_add_co_u32 v57, s1, 0x1800, v52
	v_add_co_ci_u32_e64 v58, s1, 0, v70, s1
	v_add_co_u32 v66, s1, 0x3000, v52
	v_add_co_ci_u32_e64 v67, s1, 0, v70, s1
	global_load_dwordx2 v[57:58], v[57:58], off offset:256
	v_add_nc_u32_e32 v124, 0x1000, v62
	global_load_dwordx2 v[86:87], v[66:67], off offset:112
	v_add_co_u32 v66, s1, 0x1900, v52
	v_add_co_ci_u32_e64 v67, s1, 0, v70, s1
	v_add_co_u32 v68, s1, 0x2000, v52
	v_add_co_ci_u32_e64 v69, s1, 0, v70, s1
	s_clause 0x6
	global_load_dwordx2 v[94:95], v[66:67], off offset:400
	global_load_dwordx2 v[96:97], v[66:67], off offset:800
	;; [unrolled: 1-line block ×7, first 2 shown]
	v_add_co_u32 v66, s1, 0x2800, v52
	v_add_co_ci_u32_e64 v67, s1, 0, v70, s1
	s_clause 0x6
	global_load_dwordx2 v[108:109], v[68:69], off offset:1408
	global_load_dwordx2 v[110:111], v[68:69], off offset:1808
	;; [unrolled: 1-line block ×7, first 2 shown]
	ds_read_b64 v[66:67], v62
	ds_read_b64 v[88:89], v62 offset:6000
	s_waitcnt vmcnt(15) lgkmcnt(1)
	v_mul_f32_e32 v52, v67, v58
	v_mul_f32_e32 v69, v66, v58
	s_waitcnt vmcnt(14) lgkmcnt(0)
	v_mul_f32_e32 v58, v88, v87
	v_fma_f32 v68, v66, v57, -v52
	v_fmac_f32_e32 v69, v67, v57
	v_add_nc_u32_e32 v52, 0x400, v62
	v_mul_f32_e32 v57, v89, v87
	v_fmac_f32_e32 v58, v89, v86
	ds_write_b64 v62, v[68:69]
	ds_read2_b64 v[66:69], v62 offset0:50 offset1:100
	ds_read2_b64 v[70:73], v62 offset0:150 offset1:200
	;; [unrolled: 1-line block ×5, first 2 shown]
	v_fma_f32 v57, v88, v86, -v57
	ds_read2_b64 v[86:89], v124 offset0:38 offset1:88
	ds_read2_b64 v[90:93], v124 offset0:138 offset1:188
	s_waitcnt vmcnt(13) lgkmcnt(6)
	v_mul_f32_e32 v125, v67, v95
	v_mul_f32_e32 v122, v66, v95
	s_waitcnt vmcnt(12)
	v_mul_f32_e32 v126, v69, v97
	v_mul_f32_e32 v95, v68, v97
	s_waitcnt vmcnt(11) lgkmcnt(5)
	v_mul_f32_e32 v127, v71, v99
	v_mul_f32_e32 v97, v70, v99
	s_waitcnt vmcnt(10)
	v_mul_f32_e32 v128, v73, v101
	v_mul_f32_e32 v99, v72, v101
	s_waitcnt vmcnt(7) lgkmcnt(4)
	v_mul_f32_e32 v129, v75, v107
	v_mul_f32_e32 v101, v74, v107
	;; [unrolled: 1-line block ×4, first 2 shown]
	s_waitcnt lgkmcnt(3)
	v_mul_f32_e32 v131, v79, v105
	v_mul_f32_e32 v103, v78, v105
	s_waitcnt vmcnt(6)
	v_mul_f32_e32 v132, v81, v109
	v_mul_f32_e32 v105, v80, v109
	s_waitcnt vmcnt(5) lgkmcnt(2)
	v_mul_f32_e32 v133, v83, v111
	v_mul_f32_e32 v109, v82, v111
	s_waitcnt vmcnt(4)
	v_mul_f32_e32 v134, v85, v113
	v_mul_f32_e32 v111, v84, v113
	s_waitcnt vmcnt(3) lgkmcnt(1)
	;; [unrolled: 6-line block ×3, first 2 shown]
	v_mul_f32_e32 v137, v91, v119
	v_mul_f32_e32 v117, v90, v119
	s_waitcnt vmcnt(0)
	v_mul_f32_e32 v138, v93, v121
	v_mul_f32_e32 v119, v92, v121
	v_fma_f32 v121, v66, v94, -v125
	v_fmac_f32_e32 v122, v67, v94
	v_fma_f32 v94, v68, v96, -v126
	v_fmac_f32_e32 v95, v69, v96
	;; [unrolled: 2-line block ×14, first 2 shown]
	ds_write2_b64 v62, v[121:122], v[94:95] offset0:50 offset1:100
	ds_write2_b64 v62, v[96:97], v[98:99] offset0:150 offset1:200
	;; [unrolled: 1-line block ×7, first 2 shown]
	ds_write_b64 v62, v[57:58] offset:6000
.LBB0_13:
	s_or_b32 exec_lo, exec_lo, s2
	s_waitcnt lgkmcnt(0)
	s_barrier
	buffer_gl0_inv
	s_and_saveexec_b32 s1, vcc_lo
	s_cbranch_execz .LBB0_15
; %bb.14:
	v_add_nc_u32_e32 v24, 0x800, v62
	v_add_nc_u32_e32 v25, 0xc00, v62
	;; [unrolled: 1-line block ×3, first 2 shown]
	ds_read2_b64 v[36:39], v62 offset1:50
	ds_read2_b64 v[40:43], v62 offset0:100 offset1:150
	ds_read2_b64 v[44:47], v62 offset0:200 offset1:250
	;; [unrolled: 1-line block ×7, first 2 shown]
.LBB0_15:
	s_or_b32 exec_lo, exec_lo, s1
	s_waitcnt lgkmcnt(3)
	v_sub_f32_e32 v52, v36, v53
	s_waitcnt lgkmcnt(1)
	v_sub_f32_e32 v28, v44, v28
	v_sub_f32_e32 v53, v37, v54
	;; [unrolled: 1-line block ×4, first 2 shown]
	v_fma_f32 v54, v36, 2.0, -v52
	v_fma_f32 v36, v44, 2.0, -v28
	s_waitcnt lgkmcnt(0)
	v_sub_f32_e32 v44, v48, v32
	v_fma_f32 v57, v37, 2.0, -v53
	v_fma_f32 v37, v45, 2.0, -v29
	v_sub_f32_e32 v25, v41, v25
	v_fma_f32 v40, v40, 2.0, -v24
	v_sub_f32_e32 v45, v49, v33
	v_sub_f32_e32 v55, v38, v55
	;; [unrolled: 1-line block ×3, first 2 shown]
	v_fma_f32 v48, v48, 2.0, -v44
	v_sub_f32_e32 v30, v46, v30
	v_sub_f32_e32 v31, v47, v31
	v_fma_f32 v38, v38, 2.0, -v55
	v_fma_f32 v39, v39, 2.0, -v56
	v_sub_f32_e32 v26, v42, v26
	v_sub_f32_e32 v27, v43, v27
	v_fma_f32 v46, v46, 2.0, -v30
	v_fma_f32 v47, v47, 2.0, -v31
	v_sub_f32_e32 v35, v51, v35
	v_sub_f32_e32 v32, v54, v36
	;; [unrolled: 1-line block ×3, first 2 shown]
	v_add_f32_e32 v36, v29, v52
	v_sub_f32_e32 v37, v53, v28
	v_sub_f32_e32 v58, v40, v48
	v_add_f32_e32 v68, v45, v24
	v_sub_f32_e32 v69, v25, v44
	v_fma_f32 v41, v41, 2.0, -v25
	v_sub_f32_e32 v34, v50, v34
	v_fma_f32 v43, v43, 2.0, -v27
	v_fma_f32 v29, v51, 2.0, -v35
	v_fma_f32 v28, v54, 2.0, -v32
	v_fma_f32 v54, v57, 2.0, -v33
	v_fma_f32 v57, v52, 2.0, -v36
	v_fma_f32 v66, v53, 2.0, -v37
	v_fma_f32 v40, v40, 2.0, -v58
	v_sub_f32_e32 v44, v38, v46
	v_fma_f32 v24, v24, 2.0, -v68
	v_fma_f32 v25, v25, 2.0, -v69
	v_sub_f32_e32 v46, v39, v47
	v_add_f32_e32 v51, v31, v55
	v_add_f32_e32 v35, v35, v26
	v_fma_f32 v49, v49, 2.0, -v45
	v_fma_f32 v42, v42, 2.0, -v26
	;; [unrolled: 1-line block ×3, first 2 shown]
	v_sub_f32_e32 v52, v56, v30
	v_fma_f32 v31, v39, 2.0, -v46
	v_sub_f32_e32 v29, v43, v29
	v_fma_f32 v39, v55, 2.0, -v51
	v_sub_f32_e32 v34, v27, v34
	v_fmamk_f32 v72, v24, 0xbf3504f3, v57
	v_fmamk_f32 v73, v25, 0xbf3504f3, v66
	v_fma_f32 v26, v26, 2.0, -v35
	v_sub_f32_e32 v45, v28, v40
	v_sub_f32_e32 v67, v41, v49
	;; [unrolled: 1-line block ×3, first 2 shown]
	v_fma_f32 v71, v56, 2.0, -v52
	v_fma_f32 v43, v43, 2.0, -v29
	v_fmac_f32_e32 v72, 0x3f3504f3, v25
	v_fmac_f32_e32 v73, 0xbf3504f3, v24
	v_fma_f32 v24, v27, 2.0, -v34
	v_fma_f32 v47, v28, 2.0, -v45
	v_fmamk_f32 v28, v26, 0xbf3504f3, v39
	v_fma_f32 v41, v41, 2.0, -v67
	v_fma_f32 v38, v38, 2.0, -v44
	;; [unrolled: 1-line block ×4, first 2 shown]
	v_fmamk_f32 v57, v68, 0x3f3504f3, v36
	v_fmamk_f32 v40, v24, 0xbf3504f3, v71
	v_sub_f32_e32 v55, v31, v43
	v_fmac_f32_e32 v28, 0x3f3504f3, v24
	v_sub_f32_e32 v53, v54, v41
	v_fma_f32 v50, v66, 2.0, -v73
	v_sub_f32_e32 v56, v33, v58
	v_fmamk_f32 v66, v69, 0x3f3504f3, v37
	v_fmac_f32_e32 v57, 0x3f3504f3, v69
	v_sub_f32_e32 v58, v38, v42
	v_fmac_f32_e32 v40, 0xbf3504f3, v26
	v_fma_f32 v25, v31, 2.0, -v55
	v_fma_f32 v31, v39, 2.0, -v28
	v_fmamk_f32 v69, v35, 0x3f3504f3, v51
	v_fmamk_f32 v70, v34, 0x3f3504f3, v52
	v_fma_f32 v48, v54, 2.0, -v53
	v_add_f32_e32 v54, v67, v32
	v_fmac_f32_e32 v66, 0xbf3504f3, v68
	v_fma_f32 v24, v38, 2.0, -v58
	v_fma_f32 v41, v71, 2.0, -v40
	v_add_f32_e32 v67, v29, v44
	v_sub_f32_e32 v68, v46, v30
	v_fmac_f32_e32 v69, 0x3f3504f3, v34
	v_fmac_f32_e32 v70, 0xbf3504f3, v35
	v_fmamk_f32 v26, v31, 0xbf6c835e, v49
	v_fmamk_f32 v38, v28, 0x3ec3ef15, v72
	;; [unrolled: 1-line block ×5, first 2 shown]
	v_fmac_f32_e32 v26, 0x3ec3ef15, v41
	v_fmac_f32_e32 v38, 0x3f6c835e, v40
	v_fmamk_f32 v40, v67, 0x3f3504f3, v54
	v_fmamk_f32 v41, v68, 0x3f3504f3, v56
	;; [unrolled: 1-line block ×3, first 2 shown]
	v_fmac_f32_e32 v39, 0xbf6c835e, v28
	v_fmac_f32_e32 v42, 0x3ec3ef15, v70
	;; [unrolled: 1-line block ×5, first 2 shown]
	v_sub_f32_e32 v24, v47, v24
	v_sub_f32_e32 v25, v48, v25
	v_fmac_f32_e32 v27, 0xbec3ef15, v31
	v_fma_f32 v34, v72, 2.0, -v38
	v_fma_f32 v35, v73, 2.0, -v39
	v_fma_f32 v28, v54, 2.0, -v40
	v_fma_f32 v29, v56, 2.0, -v41
	v_fma_f32 v30, v57, 2.0, -v42
	v_fma_f32 v31, v66, 2.0, -v43
	s_barrier
	buffer_gl0_inv
	s_and_saveexec_b32 s1, vcc_lo
	s_cbranch_execz .LBB0_17
; %bb.16:
	v_fma_f32 v51, v51, 2.0, -v69
	v_fma_f32 v57, v36, 2.0, -v57
	;; [unrolled: 1-line block ×8, first 2 shown]
	v_fmamk_f32 v69, v51, 0xbec3ef15, v57
	v_fmamk_f32 v68, v46, 0xbf3504f3, v56
	;; [unrolled: 1-line block ×3, first 2 shown]
	v_mov_b32_e32 v44, 3
	v_fmamk_f32 v67, v36, 0xbf3504f3, v32
	v_fmac_f32_e32 v69, 0x3f6c835e, v52
	v_fmac_f32_e32 v68, 0xbf3504f3, v36
	v_sub_f32_e32 v37, v53, v58
	v_fmac_f32_e32 v70, 0xbf6c835e, v51
	v_fmac_f32_e32 v67, 0x3f3504f3, v46
	v_add_f32_e32 v36, v55, v45
	v_fma_f32 v52, v57, 2.0, -v69
	v_fma_f32 v51, v56, 2.0, -v68
	;; [unrolled: 1-line block ×6, first 2 shown]
	v_lshlrev_b32_sdwa v44, v44, v65 dst_sel:DWORD dst_unused:UNUSED_PAD src0_sel:DWORD src1_sel:WORD_0
	v_fma_f32 v33, v53, 2.0, -v37
	v_fma_f32 v53, v66, 2.0, -v70
	;; [unrolled: 1-line block ×4, first 2 shown]
	ds_write_b128 v44, v[54:57]
	ds_write_b128 v44, v[50:53] offset:16
	ds_write_b128 v44, v[32:35] offset:32
	ds_write_b128 v44, v[28:31] offset:48
	ds_write_b128 v44, v[24:27] offset:64
	ds_write_b128 v44, v[67:70] offset:80
	ds_write_b128 v44, v[36:39] offset:96
	ds_write_b128 v44, v[40:43] offset:112
.LBB0_17:
	s_or_b32 exec_lo, exec_lo, s1
	s_waitcnt lgkmcnt(0)
	s_barrier
	buffer_gl0_inv
	ds_read2_b64 v[37:40], v62 offset1:160
	v_add_nc_u32_e32 v36, 0x800, v62
	ds_read_b64 v[32:33], v62 offset:5120
	ds_read2_b64 v[41:44], v36 offset0:64 offset1:224
	s_waitcnt lgkmcnt(0)
	s_barrier
	buffer_gl0_inv
	v_mul_f32_e32 v45, v21, v40
	v_mul_f32_e32 v21, v21, v39
	;; [unrolled: 1-line block ×3, first 2 shown]
	v_fmac_f32_e32 v45, v20, v39
	v_fma_f32 v39, v20, v40, -v21
	v_mul_f32_e32 v21, v23, v42
	v_mul_f32_e32 v20, v23, v41
	v_mul_f32_e32 v23, v17, v44
	v_mul_f32_e32 v19, v19, v32
	v_fmac_f32_e32 v46, v18, v32
	v_fmac_f32_e32 v21, v22, v41
	v_mul_f32_e32 v17, v17, v43
	v_fmac_f32_e32 v23, v16, v43
	v_fma_f32 v40, v18, v33, -v19
	v_add_f32_e32 v18, v45, v46
	v_fma_f32 v41, v22, v42, -v20
	v_fma_f32 v17, v16, v44, -v17
	v_add_f32_e32 v32, v21, v23
	v_add_f32_e32 v16, v37, v45
	v_sub_f32_e32 v19, v39, v40
	v_sub_f32_e32 v42, v45, v46
	;; [unrolled: 1-line block ×3, first 2 shown]
	v_fma_f32 v22, -0.5, v18, v37
	v_sub_f32_e32 v18, v21, v45
	v_sub_f32_e32 v45, v23, v46
	v_fma_f32 v32, -0.5, v32, v37
	v_sub_f32_e32 v44, v41, v17
	v_sub_f32_e32 v47, v46, v23
	v_add_f32_e32 v20, v38, v39
	v_add_f32_e32 v45, v18, v45
	v_fmamk_f32 v18, v19, 0xbf737871, v32
	v_fmac_f32_e32 v32, 0x3f737871, v19
	v_add_f32_e32 v43, v39, v40
	v_add_f32_e32 v16, v16, v21
	;; [unrolled: 1-line block ×4, first 2 shown]
	v_fmac_f32_e32 v18, 0xbf167918, v44
	v_fmac_f32_e32 v32, 0x3f167918, v44
	v_add_f32_e32 v48, v20, v41
	v_add_f32_e32 v16, v16, v23
	v_fmamk_f32 v20, v44, 0x3f737871, v22
	v_fmac_f32_e32 v22, 0xbf737871, v44
	v_fma_f32 v33, -0.5, v49, v38
	v_fmac_f32_e32 v18, 0x3e9e377a, v37
	v_fmac_f32_e32 v32, 0x3e9e377a, v37
	v_sub_f32_e32 v37, v21, v23
	v_fma_f32 v23, -0.5, v43, v38
	v_fmac_f32_e32 v20, 0xbf167918, v19
	v_fmac_f32_e32 v22, 0x3f167918, v19
	v_fmamk_f32 v19, v42, 0x3f737871, v33
	v_add_f32_e32 v44, v48, v17
	v_sub_f32_e32 v38, v39, v41
	v_sub_f32_e32 v43, v40, v17
	v_fmac_f32_e32 v33, 0xbf737871, v42
	v_fmamk_f32 v21, v37, 0xbf737871, v23
	v_sub_f32_e32 v39, v41, v39
	v_sub_f32_e32 v17, v17, v40
	v_fmac_f32_e32 v23, 0x3f737871, v37
	v_fmac_f32_e32 v19, 0x3f167918, v37
	v_add_f32_e32 v38, v38, v43
	v_fmac_f32_e32 v33, 0xbf167918, v37
	v_fmac_f32_e32 v21, 0x3f167918, v42
	v_add_f32_e32 v37, v39, v17
	v_fmac_f32_e32 v23, 0xbf167918, v42
	v_add_f32_e32 v16, v16, v46
	v_fmac_f32_e32 v20, 0x3e9e377a, v45
	v_fmac_f32_e32 v22, 0x3e9e377a, v45
	v_add_f32_e32 v17, v44, v40
	v_fmac_f32_e32 v19, 0x3e9e377a, v38
	v_fmac_f32_e32 v33, 0x3e9e377a, v38
	;; [unrolled: 1-line block ×4, first 2 shown]
	ds_write2_b64 v64, v[16:17], v[18:19] offset1:16
	ds_write2_b64 v64, v[20:21], v[22:23] offset0:32 offset1:48
	ds_write_b64 v64, v[32:33] offset:512
	s_waitcnt lgkmcnt(0)
	s_barrier
	buffer_gl0_inv
	s_and_saveexec_b32 s1, s0
	s_cbranch_execz .LBB0_19
; %bb.18:
	v_add_nc_u32_e32 v24, 0xc00, v62
	v_add_nc_u32_e32 v25, 0x1000, v62
	ds_read2_b64 v[16:19], v62 offset1:80
	ds_read2_b64 v[20:23], v62 offset0:160 offset1:240
	ds_read2_b64 v[32:35], v36 offset0:64 offset1:144
	;; [unrolled: 1-line block ×4, first 2 shown]
.LBB0_19:
	s_or_b32 exec_lo, exec_lo, s1
	s_and_saveexec_b32 s1, s0
	s_cbranch_execz .LBB0_21
; %bb.20:
	s_waitcnt lgkmcnt(2)
	v_mul_f32_e32 v36, v3, v32
	s_waitcnt lgkmcnt(1)
	v_mul_f32_e32 v37, v15, v28
	v_mul_f32_e32 v38, v7, v20
	s_waitcnt lgkmcnt(0)
	v_mul_f32_e32 v39, v11, v24
	v_mul_f32_e32 v40, v7, v21
	v_fma_f32 v36, v2, v33, -v36
	v_fma_f32 v37, v14, v29, -v37
	v_mul_f32_e32 v11, v11, v25
	v_mul_f32_e32 v15, v15, v29
	v_fmac_f32_e32 v40, v6, v20
	v_mul_f32_e32 v29, v1, v23
	v_add_f32_e32 v7, v37, v36
	v_fmac_f32_e32 v11, v10, v24
	v_mul_f32_e32 v24, v3, v33
	v_fmac_f32_e32 v15, v14, v28
	v_mul_f32_e32 v14, v9, v31
	v_fma_f32 v20, -0.5, v7, v17
	v_mul_f32_e32 v7, v13, v34
	v_mul_f32_e32 v9, v9, v30
	;; [unrolled: 1-line block ×3, first 2 shown]
	v_fmac_f32_e32 v24, v2, v32
	v_mul_f32_e32 v2, v61, v27
	v_mul_f32_e32 v13, v5, v19
	v_fmac_f32_e32 v14, v8, v30
	v_fma_f32 v7, v12, v35, -v7
	v_mul_f32_e32 v5, v5, v18
	v_fma_f32 v8, v8, v31, -v9
	v_mul_f32_e32 v1, v1, v22
	v_mul_f32_e32 v9, v61, v26
	v_fmac_f32_e32 v29, v0, v22
	v_fmac_f32_e32 v2, v60, v26
	v_fmac_f32_e32 v13, v4, v18
	v_fma_f32 v4, v4, v19, -v5
	v_add_f32_e32 v5, v8, v7
	v_fma_f32 v0, v0, v23, -v1
	v_fma_f32 v9, v60, v27, -v9
	;; [unrolled: 1-line block ×3, first 2 shown]
	v_fmac_f32_e32 v33, v12, v34
	v_fma_f32 v18, -0.5, v5, v4
	v_sub_f32_e32 v5, v29, v2
	v_sub_f32_e32 v19, v0, v9
	;; [unrolled: 1-line block ×3, first 2 shown]
	v_add_f32_e32 v38, v9, v0
	v_sub_f32_e32 v44, v7, v0
	v_add_f32_e32 v0, v0, v4
	v_fma_f32 v25, v10, v25, -v39
	v_add_f32_e32 v12, v14, v33
	v_sub_f32_e32 v23, v9, v8
	v_fmamk_f32 v26, v5, 0xbf737871, v18
	v_sub_f32_e32 v27, v33, v14
	v_fmac_f32_e32 v18, 0x3f737871, v5
	v_add_f32_e32 v0, v7, v0
	v_sub_f32_e32 v3, v40, v11
	v_fma_f32 v12, -0.5, v12, v13
	v_add_f32_e32 v22, v23, v22
	v_fmac_f32_e32 v26, 0xbf167918, v27
	v_add_f32_e32 v34, v25, v21
	v_fma_f32 v38, -0.5, v38, v4
	v_fmac_f32_e32 v18, 0x3f167918, v27
	v_add_f32_e32 v0, v8, v0
	v_sub_f32_e32 v6, v21, v36
	v_sub_f32_e32 v10, v25, v37
	;; [unrolled: 1-line block ×4, first 2 shown]
	v_fmamk_f32 v30, v19, 0x3f737871, v12
	v_sub_f32_e32 v31, v7, v8
	v_fmamk_f32 v23, v3, 0xbf737871, v20
	v_sub_f32_e32 v32, v24, v15
	v_fmac_f32_e32 v26, 0x3e9e377a, v22
	v_add_f32_e32 v39, v2, v29
	v_fma_f32 v34, -0.5, v34, v17
	v_fmamk_f32 v46, v27, 0x3f737871, v38
	v_fmac_f32_e32 v38, 0xbf737871, v27
	v_fmac_f32_e32 v12, 0xbf737871, v19
	;; [unrolled: 1-line block ×4, first 2 shown]
	v_add_f32_e32 v22, v9, v0
	v_add_f32_e32 v0, v15, v24
	;; [unrolled: 1-line block ×4, first 2 shown]
	v_fmac_f32_e32 v30, 0x3f167918, v31
	v_add_f32_e32 v6, v10, v6
	v_fmac_f32_e32 v23, 0xbf167918, v32
	v_sub_f32_e32 v35, v36, v21
	v_fma_f32 v39, -0.5, v39, v13
	v_sub_f32_e32 v45, v8, v9
	v_fmamk_f32 v48, v32, 0x3f737871, v34
	v_fmac_f32_e32 v46, 0xbf167918, v5
	v_fmac_f32_e32 v34, 0xbf737871, v32
	;; [unrolled: 1-line block ×3, first 2 shown]
	v_add_f32_e32 v5, v21, v17
	v_fmac_f32_e32 v12, 0xbf167918, v31
	v_fmac_f32_e32 v20, 0x3f167918, v32
	v_fma_f32 v27, -0.5, v0, v16
	v_sub_f32_e32 v0, v21, v25
	v_sub_f32_e32 v8, v36, v37
	v_fma_f32 v21, -0.5, v4, v16
	v_fmac_f32_e32 v30, 0x3e9e377a, v28
	v_fmac_f32_e32 v23, 0x3e9e377a, v6
	v_fmamk_f32 v47, v31, 0xbf737871, v39
	v_fmac_f32_e32 v48, 0xbf167918, v3
	v_fmac_f32_e32 v39, 0x3f737871, v31
	;; [unrolled: 1-line block ×3, first 2 shown]
	v_add_f32_e32 v3, v36, v5
	v_fmac_f32_e32 v12, 0x3e9e377a, v28
	v_fmac_f32_e32 v20, 0x3e9e377a, v6
	v_sub_f32_e32 v6, v40, v24
	v_sub_f32_e32 v4, v11, v15
	v_sub_f32_e32 v28, v24, v40
	v_sub_f32_e32 v31, v15, v11
	v_fmamk_f32 v32, v8, 0xbf737871, v21
	v_fmac_f32_e32 v21, 0x3f737871, v8
	v_sub_f32_e32 v42, v33, v29
	v_sub_f32_e32 v43, v14, v2
	v_add_f32_e32 v3, v37, v3
	v_add_f32_e32 v4, v4, v6
	;; [unrolled: 1-line block ×3, first 2 shown]
	v_fmac_f32_e32 v32, 0x3f167918, v0
	v_fmac_f32_e32 v21, 0xbf167918, v0
	v_add_f32_e32 v16, v40, v16
	v_add_f32_e32 v13, v29, v13
	v_sub_f32_e32 v41, v37, v25
	v_add_f32_e32 v42, v43, v42
	v_add_f32_e32 v43, v45, v44
	v_fmac_f32_e32 v47, 0x3f167918, v19
	v_fmac_f32_e32 v39, 0xbf167918, v19
	v_add_f32_e32 v19, v25, v3
	v_fmamk_f32 v25, v0, 0x3f737871, v27
	v_fmac_f32_e32 v32, 0x3e9e377a, v6
	v_fmac_f32_e32 v27, 0xbf737871, v0
	;; [unrolled: 1-line block ×3, first 2 shown]
	v_add_f32_e32 v0, v24, v16
	v_add_f32_e32 v6, v33, v13
	;; [unrolled: 1-line block ×3, first 2 shown]
	v_fmac_f32_e32 v46, 0x3e9e377a, v43
	v_fmac_f32_e32 v38, 0x3e9e377a, v43
	v_mul_f32_e32 v17, 0x3f4f1bbd, v18
	v_fmac_f32_e32 v27, 0xbf167918, v8
	v_mul_f32_e32 v16, 0xbf167918, v18
	v_add_f32_e32 v0, v15, v0
	v_add_f32_e32 v6, v14, v6
	v_fmac_f32_e32 v47, 0x3e9e377a, v42
	v_mul_f32_e32 v41, 0xbe9e377a, v46
	v_fmac_f32_e32 v48, 0x3e9e377a, v35
	v_fmac_f32_e32 v34, 0x3e9e377a, v35
	;; [unrolled: 1-line block ×3, first 2 shown]
	v_mul_f32_e32 v35, 0x3e9e377a, v38
	v_mul_f32_e32 v28, 0xbf737871, v46
	v_mul_f32_e32 v24, 0xbf737871, v38
	v_mul_f32_e32 v10, 0xbf4f1bbd, v26
	v_fmac_f32_e32 v25, 0x3f167918, v8
	v_mul_f32_e32 v26, 0xbf167918, v26
	v_fmac_f32_e32 v17, 0x3f167918, v12
	v_fmac_f32_e32 v27, 0x3e9e377a, v4
	v_fmac_f32_e32 v16, 0x3f4f1bbd, v12
	v_add_f32_e32 v14, v11, v0
	v_add_f32_e32 v18, v2, v6
	v_fmac_f32_e32 v41, 0x3f737871, v47
	v_fmac_f32_e32 v35, 0x3f737871, v39
	;; [unrolled: 1-line block ×7, first 2 shown]
	v_sub_f32_e32 v7, v20, v17
	v_sub_f32_e32 v9, v19, v22
	;; [unrolled: 1-line block ×4, first 2 shown]
	v_add_f32_e32 v17, v20, v17
	v_add_f32_e32 v19, v19, v22
	;; [unrolled: 1-line block ×8, first 2 shown]
	v_sub_f32_e32 v1, v23, v10
	v_add_f32_e32 v11, v23, v10
	v_add_f32_e32 v10, v25, v26
	v_add_nc_u32_e32 v20, 0x800, v62
	v_sub_f32_e32 v5, v34, v35
	v_sub_f32_e32 v4, v21, v24
	v_add_nc_u32_e32 v21, 0xc00, v62
	v_sub_f32_e32 v3, v48, v41
	v_sub_f32_e32 v0, v25, v26
	;; [unrolled: 1-line block ×3, first 2 shown]
	v_add_nc_u32_e32 v22, 0x1000, v62
	ds_write2_b64 v62, v[18:19], v[16:17] offset1:80
	ds_write2_b64 v62, v[14:15], v[12:13] offset0:160 offset1:240
	ds_write2_b64 v20, v[10:11], v[8:9] offset0:64 offset1:144
	;; [unrolled: 1-line block ×4, first 2 shown]
.LBB0_21:
	s_or_b32 exec_lo, exec_lo, s1
	s_waitcnt lgkmcnt(0)
	s_barrier
	buffer_gl0_inv
	s_and_b32 exec_lo, exec_lo, vcc_lo
	s_cbranch_execz .LBB0_23
; %bb.22:
	v_add_co_u32 v2, s0, s14, v62
	v_add_co_ci_u32_e64 v3, null, s15, 0, s0
	s_clause 0x5
	global_load_dwordx2 v[24:25], v62, s[14:15]
	global_load_dwordx2 v[26:27], v62, s[14:15] offset:400
	global_load_dwordx2 v[28:29], v62, s[14:15] offset:800
	;; [unrolled: 1-line block ×5, first 2 shown]
	v_add_co_u32 v0, vcc_lo, 0x800, v2
	v_add_co_ci_u32_e32 v1, vcc_lo, 0, v3, vcc_lo
	v_add_co_u32 v42, vcc_lo, 0x1000, v2
	v_add_co_ci_u32_e32 v43, vcc_lo, 0, v3, vcc_lo
	s_clause 0x5
	global_load_dwordx2 v[36:37], v[0:1], off offset:352
	global_load_dwordx2 v[38:39], v[0:1], off offset:752
	;; [unrolled: 1-line block ×6, first 2 shown]
	v_mad_u64_u32 v[4:5], null, s6, v59, 0
	v_mad_u64_u32 v[6:7], null, s4, v63, 0
	ds_read_b64 v[50:51], v62
	v_add_nc_u32_e32 v16, 0x800, v62
	v_add_nc_u32_e32 v74, 0x1000, v62
	s_mul_i32 s3, s5, 0x190
	v_mov_b32_e32 v0, v5
	s_mul_i32 s2, s4, 0x190
	v_mov_b32_e32 v1, v7
	ds_read2_b64 v[12:15], v16 offset0:94 offset1:144
	ds_read2_b64 v[16:19], v16 offset0:194 offset1:244
	ds_read2_b64 v[20:23], v74 offset0:38 offset1:88
	s_mov_b32 s0, 0x47ae147b
	v_mad_u64_u32 v[2:3], null, s7, v59, v[0:1]
	s_mov_b32 s1, 0x3f547ae1
	v_mov_b32_e32 v5, v2
	v_mad_u64_u32 v[7:8], null, s5, v63, v[1:2]
	ds_read2_b64 v[0:3], v62 offset0:50 offset1:100
	s_mul_hi_u32 s5, s4, 0x190
	v_lshlrev_b64 v[4:5], 3, v[4:5]
	s_add_i32 s3, s5, s3
	v_lshlrev_b64 v[8:9], 3, v[6:7]
	v_add_co_u32 v10, vcc_lo, s12, v4
	v_add_co_ci_u32_e32 v11, vcc_lo, s13, v5, vcc_lo
	ds_read2_b64 v[4:7], v62 offset0:150 offset1:200
	v_add_co_u32 v52, vcc_lo, v10, v8
	v_add_nc_u32_e32 v8, 0x400, v62
	v_add_co_ci_u32_e32 v53, vcc_lo, v11, v9, vcc_lo
	v_add_co_u32 v54, vcc_lo, v52, s2
	ds_read2_b64 v[8:11], v8 offset0:122 offset1:172
	v_add_co_ci_u32_e32 v55, vcc_lo, s3, v53, vcc_lo
	v_add_co_u32 v56, vcc_lo, v54, s2
	ds_read_b64 v[62:63], v62 offset:6000
	v_add_co_ci_u32_e32 v57, vcc_lo, s3, v55, vcc_lo
	v_add_co_u32 v58, vcc_lo, v56, s2
	v_add_co_ci_u32_e32 v59, vcc_lo, s3, v57, vcc_lo
	v_add_co_u32 v60, vcc_lo, v58, s2
	;; [unrolled: 2-line block ×7, first 2 shown]
	v_add_co_ci_u32_e32 v73, vcc_lo, s3, v71, vcc_lo
	s_waitcnt vmcnt(11) lgkmcnt(7)
	v_mul_f32_e32 v75, v51, v25
	s_waitcnt vmcnt(10) lgkmcnt(3)
	v_mul_f32_e32 v76, v1, v27
	s_waitcnt vmcnt(9)
	v_mul_f32_e32 v77, v3, v29
	v_mul_f32_e32 v25, v50, v25
	;; [unrolled: 1-line block ×4, first 2 shown]
	s_waitcnt vmcnt(8) lgkmcnt(2)
	v_mul_f32_e32 v78, v5, v31
	s_waitcnt vmcnt(7)
	v_mul_f32_e32 v79, v7, v33
	s_waitcnt vmcnt(6) lgkmcnt(1)
	v_mul_f32_e32 v80, v9, v35
	v_fmac_f32_e32 v75, v50, v24
	v_mul_f32_e32 v31, v4, v31
	v_fmac_f32_e32 v76, v0, v26
	;; [unrolled: 2-line block ×3, first 2 shown]
	v_mul_f32_e32 v33, v6, v33
	v_fma_f32 v24, v24, v51, -v25
	v_fma_f32 v25, v26, v1, -v27
	;; [unrolled: 1-line block ×3, first 2 shown]
	v_fmac_f32_e32 v78, v4, v30
	v_fmac_f32_e32 v79, v6, v32
	v_fmac_f32_e32 v80, v8, v34
	v_cvt_f64_f32_e32 v[0:1], v75
	s_waitcnt vmcnt(5)
	v_mul_f32_e32 v75, v11, v37
	v_mul_f32_e32 v37, v10, v37
	v_fma_f32 v28, v30, v5, -v31
	v_cvt_f64_f32_e32 v[4:5], v76
	s_waitcnt vmcnt(4)
	v_mul_f32_e32 v76, v13, v39
	v_mul_f32_e32 v39, v12, v39
	v_fma_f32 v50, v34, v9, -v35
	;; [unrolled: 5-line block ×3, first 2 shown]
	v_cvt_f64_f32_e32 v[2:3], v24
	v_cvt_f64_f32_e32 v[6:7], v25
	;; [unrolled: 1-line block ×4, first 2 shown]
	s_waitcnt vmcnt(2)
	v_mul_f32_e32 v78, v17, v45
	v_mul_f32_e32 v45, v16, v45
	v_cvt_f64_f32_e32 v[30:31], v79
	s_waitcnt vmcnt(1)
	v_mul_f32_e32 v79, v19, v47
	v_mul_f32_e32 v47, v18, v47
	v_cvt_f64_f32_e32 v[34:35], v80
	s_waitcnt vmcnt(0)
	v_mul_f32_e32 v80, v21, v49
	v_mul_f32_e32 v49, v20, v49
	v_fmac_f32_e32 v75, v10, v36
	v_fma_f32 v36, v36, v11, -v37
	v_fmac_f32_e32 v76, v12, v38
	v_fma_f32 v37, v38, v13, -v39
	v_cvt_f64_f32_e32 v[28:29], v28
	v_fmac_f32_e32 v77, v14, v40
	v_fma_f32 v38, v40, v15, -v41
	v_cvt_f64_f32_e32 v[32:33], v32
	;; [unrolled: 3-line block ×3, first 2 shown]
	v_fmac_f32_e32 v79, v18, v46
	v_fma_f32 v44, v46, v19, -v47
	v_fmac_f32_e32 v80, v20, v48
	v_fma_f32 v48, v48, v21, -v49
	v_cvt_f64_f32_e32 v[10:11], v75
	v_cvt_f64_f32_e32 v[12:13], v36
	;; [unrolled: 1-line block ×12, first 2 shown]
	v_mul_f64 v[0:1], v[0:1], s[0:1]
	v_mul_f64 v[2:3], v[2:3], s[0:1]
	;; [unrolled: 1-line block ×24, first 2 shown]
	v_cvt_f32_f64_e32 v0, v[0:1]
	v_cvt_f32_f64_e32 v1, v[2:3]
	;; [unrolled: 1-line block ×24, first 2 shown]
	v_add_co_u32 v26, vcc_lo, v72, s2
	v_add_co_ci_u32_e32 v27, vcc_lo, s3, v73, vcc_lo
	v_add_co_u32 v28, vcc_lo, v26, s2
	v_add_co_ci_u32_e32 v29, vcc_lo, s3, v27, vcc_lo
	global_store_dwordx2 v[52:53], v[0:1], off
	global_store_dwordx2 v[54:55], v[2:3], off
	;; [unrolled: 1-line block ×12, first 2 shown]
	global_load_dwordx2 v[0:1], v[42:43], off offset:704
	v_add_co_u32 v4, vcc_lo, v28, s2
	v_add_co_ci_u32_e32 v5, vcc_lo, s3, v29, vcc_lo
	s_waitcnt vmcnt(0)
	v_mul_f32_e32 v2, v23, v1
	v_mul_f32_e32 v1, v22, v1
	v_fmac_f32_e32 v2, v22, v0
	v_fma_f32 v3, v0, v23, -v1
	v_cvt_f64_f32_e32 v[0:1], v2
	v_cvt_f64_f32_e32 v[2:3], v3
	v_mul_f64 v[0:1], v[0:1], s[0:1]
	v_mul_f64 v[2:3], v[2:3], s[0:1]
	v_cvt_f32_f64_e32 v0, v[0:1]
	v_cvt_f32_f64_e32 v1, v[2:3]
	global_store_dwordx2 v[4:5], v[0:1], off
	global_load_dwordx2 v[6:7], v[42:43], off offset:1104
	ds_read2_b64 v[0:3], v74 offset0:138 offset1:188
	v_add_co_u32 v4, vcc_lo, v4, s2
	v_add_co_ci_u32_e32 v5, vcc_lo, s3, v5, vcc_lo
	s_waitcnt vmcnt(0) lgkmcnt(0)
	v_mul_f32_e32 v8, v1, v7
	v_mul_f32_e32 v7, v0, v7
	v_fmac_f32_e32 v8, v0, v6
	v_fma_f32 v6, v6, v1, -v7
	v_cvt_f64_f32_e32 v[0:1], v8
	v_cvt_f64_f32_e32 v[6:7], v6
	v_mul_f64 v[0:1], v[0:1], s[0:1]
	v_mul_f64 v[6:7], v[6:7], s[0:1]
	v_cvt_f32_f64_e32 v0, v[0:1]
	v_cvt_f32_f64_e32 v1, v[6:7]
	global_store_dwordx2 v[4:5], v[0:1], off
	global_load_dwordx2 v[0:1], v[42:43], off offset:1504
	s_waitcnt vmcnt(0)
	v_mul_f32_e32 v6, v3, v1
	v_mul_f32_e32 v1, v2, v1
	v_fmac_f32_e32 v6, v2, v0
	v_fma_f32 v2, v0, v3, -v1
	v_cvt_f64_f32_e32 v[0:1], v6
	v_cvt_f64_f32_e32 v[2:3], v2
	v_mul_f64 v[0:1], v[0:1], s[0:1]
	v_mul_f64 v[2:3], v[2:3], s[0:1]
	v_cvt_f32_f64_e32 v0, v[0:1]
	v_cvt_f32_f64_e32 v1, v[2:3]
	v_add_co_u32 v2, vcc_lo, v4, s2
	v_add_co_ci_u32_e32 v3, vcc_lo, s3, v5, vcc_lo
	global_store_dwordx2 v[2:3], v[0:1], off
	global_load_dwordx2 v[0:1], v[42:43], off offset:1904
	v_add_co_u32 v2, vcc_lo, v2, s2
	v_add_co_ci_u32_e32 v3, vcc_lo, s3, v3, vcc_lo
	s_waitcnt vmcnt(0)
	v_mul_f32_e32 v4, v63, v1
	v_mul_f32_e32 v1, v62, v1
	v_fmac_f32_e32 v4, v62, v0
	v_fma_f32 v5, v0, v63, -v1
	v_cvt_f64_f32_e32 v[0:1], v4
	v_cvt_f64_f32_e32 v[4:5], v5
	v_mul_f64 v[0:1], v[0:1], s[0:1]
	v_mul_f64 v[4:5], v[4:5], s[0:1]
	v_cvt_f32_f64_e32 v0, v[0:1]
	v_cvt_f32_f64_e32 v1, v[4:5]
	global_store_dwordx2 v[2:3], v[0:1], off
.LBB0_23:
	s_endpgm
	.section	.rodata,"a",@progbits
	.p2align	6, 0x0
	.amdhsa_kernel bluestein_single_fwd_len800_dim1_sp_op_CI_CI
		.amdhsa_group_segment_fixed_size 6400
		.amdhsa_private_segment_fixed_size 0
		.amdhsa_kernarg_size 104
		.amdhsa_user_sgpr_count 6
		.amdhsa_user_sgpr_private_segment_buffer 1
		.amdhsa_user_sgpr_dispatch_ptr 0
		.amdhsa_user_sgpr_queue_ptr 0
		.amdhsa_user_sgpr_kernarg_segment_ptr 1
		.amdhsa_user_sgpr_dispatch_id 0
		.amdhsa_user_sgpr_flat_scratch_init 0
		.amdhsa_user_sgpr_private_segment_size 0
		.amdhsa_wavefront_size32 1
		.amdhsa_uses_dynamic_stack 0
		.amdhsa_system_sgpr_private_segment_wavefront_offset 0
		.amdhsa_system_sgpr_workgroup_id_x 1
		.amdhsa_system_sgpr_workgroup_id_y 0
		.amdhsa_system_sgpr_workgroup_id_z 0
		.amdhsa_system_sgpr_workgroup_info 0
		.amdhsa_system_vgpr_workitem_id 0
		.amdhsa_next_free_vgpr 139
		.amdhsa_next_free_sgpr 16
		.amdhsa_reserve_vcc 1
		.amdhsa_reserve_flat_scratch 0
		.amdhsa_float_round_mode_32 0
		.amdhsa_float_round_mode_16_64 0
		.amdhsa_float_denorm_mode_32 3
		.amdhsa_float_denorm_mode_16_64 3
		.amdhsa_dx10_clamp 1
		.amdhsa_ieee_mode 1
		.amdhsa_fp16_overflow 0
		.amdhsa_workgroup_processor_mode 1
		.amdhsa_memory_ordered 1
		.amdhsa_forward_progress 0
		.amdhsa_shared_vgpr_count 0
		.amdhsa_exception_fp_ieee_invalid_op 0
		.amdhsa_exception_fp_denorm_src 0
		.amdhsa_exception_fp_ieee_div_zero 0
		.amdhsa_exception_fp_ieee_overflow 0
		.amdhsa_exception_fp_ieee_underflow 0
		.amdhsa_exception_fp_ieee_inexact 0
		.amdhsa_exception_int_div_zero 0
	.end_amdhsa_kernel
	.text
.Lfunc_end0:
	.size	bluestein_single_fwd_len800_dim1_sp_op_CI_CI, .Lfunc_end0-bluestein_single_fwd_len800_dim1_sp_op_CI_CI
                                        ; -- End function
	.section	.AMDGPU.csdata,"",@progbits
; Kernel info:
; codeLenInByte = 9924
; NumSgprs: 18
; NumVgprs: 139
; ScratchSize: 0
; MemoryBound: 0
; FloatMode: 240
; IeeeMode: 1
; LDSByteSize: 6400 bytes/workgroup (compile time only)
; SGPRBlocks: 2
; VGPRBlocks: 17
; NumSGPRsForWavesPerEU: 18
; NumVGPRsForWavesPerEU: 139
; Occupancy: 7
; WaveLimiterHint : 1
; COMPUTE_PGM_RSRC2:SCRATCH_EN: 0
; COMPUTE_PGM_RSRC2:USER_SGPR: 6
; COMPUTE_PGM_RSRC2:TRAP_HANDLER: 0
; COMPUTE_PGM_RSRC2:TGID_X_EN: 1
; COMPUTE_PGM_RSRC2:TGID_Y_EN: 0
; COMPUTE_PGM_RSRC2:TGID_Z_EN: 0
; COMPUTE_PGM_RSRC2:TIDIG_COMP_CNT: 0
	.text
	.p2alignl 6, 3214868480
	.fill 48, 4, 3214868480
	.type	__hip_cuid_f119b3af25e90593,@object ; @__hip_cuid_f119b3af25e90593
	.section	.bss,"aw",@nobits
	.globl	__hip_cuid_f119b3af25e90593
__hip_cuid_f119b3af25e90593:
	.byte	0                               ; 0x0
	.size	__hip_cuid_f119b3af25e90593, 1

	.ident	"AMD clang version 19.0.0git (https://github.com/RadeonOpenCompute/llvm-project roc-6.4.0 25133 c7fe45cf4b819c5991fe208aaa96edf142730f1d)"
	.section	".note.GNU-stack","",@progbits
	.addrsig
	.addrsig_sym __hip_cuid_f119b3af25e90593
	.amdgpu_metadata
---
amdhsa.kernels:
  - .args:
      - .actual_access:  read_only
        .address_space:  global
        .offset:         0
        .size:           8
        .value_kind:     global_buffer
      - .actual_access:  read_only
        .address_space:  global
        .offset:         8
        .size:           8
        .value_kind:     global_buffer
      - .actual_access:  read_only
        .address_space:  global
        .offset:         16
        .size:           8
        .value_kind:     global_buffer
      - .actual_access:  read_only
        .address_space:  global
        .offset:         24
        .size:           8
        .value_kind:     global_buffer
      - .actual_access:  read_only
        .address_space:  global
        .offset:         32
        .size:           8
        .value_kind:     global_buffer
      - .offset:         40
        .size:           8
        .value_kind:     by_value
      - .address_space:  global
        .offset:         48
        .size:           8
        .value_kind:     global_buffer
      - .address_space:  global
        .offset:         56
        .size:           8
        .value_kind:     global_buffer
      - .address_space:  global
        .offset:         64
        .size:           8
        .value_kind:     global_buffer
      - .address_space:  global
        .offset:         72
        .size:           8
        .value_kind:     global_buffer
      - .offset:         80
        .size:           4
        .value_kind:     by_value
      - .address_space:  global
        .offset:         88
        .size:           8
        .value_kind:     global_buffer
      - .address_space:  global
        .offset:         96
        .size:           8
        .value_kind:     global_buffer
    .group_segment_fixed_size: 6400
    .kernarg_segment_align: 8
    .kernarg_segment_size: 104
    .language:       OpenCL C
    .language_version:
      - 2
      - 0
    .max_flat_workgroup_size: 160
    .name:           bluestein_single_fwd_len800_dim1_sp_op_CI_CI
    .private_segment_fixed_size: 0
    .sgpr_count:     18
    .sgpr_spill_count: 0
    .symbol:         bluestein_single_fwd_len800_dim1_sp_op_CI_CI.kd
    .uniform_work_group_size: 1
    .uses_dynamic_stack: false
    .vgpr_count:     139
    .vgpr_spill_count: 0
    .wavefront_size: 32
    .workgroup_processor_mode: 1
amdhsa.target:   amdgcn-amd-amdhsa--gfx1030
amdhsa.version:
  - 1
  - 2
...

	.end_amdgpu_metadata
